;; amdgpu-corpus repo=ROCm/rocFFT kind=compiled arch=gfx906 opt=O3
	.text
	.amdgcn_target "amdgcn-amd-amdhsa--gfx906"
	.amdhsa_code_object_version 6
	.protected	fft_rtc_fwd_len672_factors_2_2_2_2_2_3_7_wgs_56_tpt_56_halfLds_sp_ip_CI_unitstride_sbrr_dirReg ; -- Begin function fft_rtc_fwd_len672_factors_2_2_2_2_2_3_7_wgs_56_tpt_56_halfLds_sp_ip_CI_unitstride_sbrr_dirReg
	.globl	fft_rtc_fwd_len672_factors_2_2_2_2_2_3_7_wgs_56_tpt_56_halfLds_sp_ip_CI_unitstride_sbrr_dirReg
	.p2align	8
	.type	fft_rtc_fwd_len672_factors_2_2_2_2_2_3_7_wgs_56_tpt_56_halfLds_sp_ip_CI_unitstride_sbrr_dirReg,@function
fft_rtc_fwd_len672_factors_2_2_2_2_2_3_7_wgs_56_tpt_56_halfLds_sp_ip_CI_unitstride_sbrr_dirReg: ; @fft_rtc_fwd_len672_factors_2_2_2_2_2_3_7_wgs_56_tpt_56_halfLds_sp_ip_CI_unitstride_sbrr_dirReg
; %bb.0:
	s_load_dwordx2 s[12:13], s[4:5], 0x50
	s_load_dwordx4 s[8:11], s[4:5], 0x0
	s_load_dwordx2 s[2:3], s[4:5], 0x18
	v_mul_u32_u24_e32 v1, 0x493, v0
	v_add_u32_sdwa v5, s6, v1 dst_sel:DWORD dst_unused:UNUSED_PAD src0_sel:DWORD src1_sel:WORD_1
	v_mov_b32_e32 v3, 0
	s_waitcnt lgkmcnt(0)
	v_cmp_lt_u64_e64 s[0:1], s[10:11], 2
	v_mov_b32_e32 v1, 0
	v_mov_b32_e32 v6, v3
	s_and_b64 vcc, exec, s[0:1]
	v_mov_b32_e32 v2, 0
	s_cbranch_vccnz .LBB0_8
; %bb.1:
	s_load_dwordx2 s[0:1], s[4:5], 0x10
	s_add_u32 s6, s2, 8
	s_addc_u32 s7, s3, 0
	v_mov_b32_e32 v1, 0
	v_mov_b32_e32 v2, 0
	s_waitcnt lgkmcnt(0)
	s_add_u32 s14, s0, 8
	s_addc_u32 s15, s1, 0
	s_mov_b64 s[16:17], 1
.LBB0_2:                                ; =>This Inner Loop Header: Depth=1
	s_load_dwordx2 s[18:19], s[14:15], 0x0
                                        ; implicit-def: $vgpr7_vgpr8
	s_waitcnt lgkmcnt(0)
	v_or_b32_e32 v4, s19, v6
	v_cmp_ne_u64_e32 vcc, 0, v[3:4]
	s_and_saveexec_b64 s[0:1], vcc
	s_xor_b64 s[20:21], exec, s[0:1]
	s_cbranch_execz .LBB0_4
; %bb.3:                                ;   in Loop: Header=BB0_2 Depth=1
	v_cvt_f32_u32_e32 v4, s18
	v_cvt_f32_u32_e32 v7, s19
	s_sub_u32 s0, 0, s18
	s_subb_u32 s1, 0, s19
	v_mac_f32_e32 v4, 0x4f800000, v7
	v_rcp_f32_e32 v4, v4
	v_mul_f32_e32 v4, 0x5f7ffffc, v4
	v_mul_f32_e32 v7, 0x2f800000, v4
	v_trunc_f32_e32 v7, v7
	v_mac_f32_e32 v4, 0xcf800000, v7
	v_cvt_u32_f32_e32 v7, v7
	v_cvt_u32_f32_e32 v4, v4
	v_mul_lo_u32 v8, s0, v7
	v_mul_hi_u32 v9, s0, v4
	v_mul_lo_u32 v11, s1, v4
	v_mul_lo_u32 v10, s0, v4
	v_add_u32_e32 v8, v9, v8
	v_add_u32_e32 v8, v8, v11
	v_mul_hi_u32 v9, v4, v10
	v_mul_lo_u32 v11, v4, v8
	v_mul_hi_u32 v13, v4, v8
	v_mul_hi_u32 v12, v7, v10
	v_mul_lo_u32 v10, v7, v10
	v_mul_hi_u32 v14, v7, v8
	v_add_co_u32_e32 v9, vcc, v9, v11
	v_addc_co_u32_e32 v11, vcc, 0, v13, vcc
	v_mul_lo_u32 v8, v7, v8
	v_add_co_u32_e32 v9, vcc, v9, v10
	v_addc_co_u32_e32 v9, vcc, v11, v12, vcc
	v_addc_co_u32_e32 v10, vcc, 0, v14, vcc
	v_add_co_u32_e32 v8, vcc, v9, v8
	v_addc_co_u32_e32 v9, vcc, 0, v10, vcc
	v_add_co_u32_e32 v4, vcc, v4, v8
	v_addc_co_u32_e32 v7, vcc, v7, v9, vcc
	v_mul_lo_u32 v8, s0, v7
	v_mul_hi_u32 v9, s0, v4
	v_mul_lo_u32 v10, s1, v4
	v_mul_lo_u32 v11, s0, v4
	v_add_u32_e32 v8, v9, v8
	v_add_u32_e32 v8, v8, v10
	v_mul_lo_u32 v12, v4, v8
	v_mul_hi_u32 v13, v4, v11
	v_mul_hi_u32 v14, v4, v8
	;; [unrolled: 1-line block ×3, first 2 shown]
	v_mul_lo_u32 v11, v7, v11
	v_mul_hi_u32 v9, v7, v8
	v_add_co_u32_e32 v12, vcc, v13, v12
	v_addc_co_u32_e32 v13, vcc, 0, v14, vcc
	v_mul_lo_u32 v8, v7, v8
	v_add_co_u32_e32 v11, vcc, v12, v11
	v_addc_co_u32_e32 v10, vcc, v13, v10, vcc
	v_addc_co_u32_e32 v9, vcc, 0, v9, vcc
	v_add_co_u32_e32 v8, vcc, v10, v8
	v_addc_co_u32_e32 v9, vcc, 0, v9, vcc
	v_add_co_u32_e32 v4, vcc, v4, v8
	v_addc_co_u32_e32 v9, vcc, v7, v9, vcc
	v_mad_u64_u32 v[7:8], s[0:1], v5, v9, 0
	v_mul_hi_u32 v10, v5, v4
	v_add_co_u32_e32 v11, vcc, v10, v7
	v_addc_co_u32_e32 v12, vcc, 0, v8, vcc
	v_mad_u64_u32 v[7:8], s[0:1], v6, v4, 0
	v_mad_u64_u32 v[9:10], s[0:1], v6, v9, 0
	v_add_co_u32_e32 v4, vcc, v11, v7
	v_addc_co_u32_e32 v4, vcc, v12, v8, vcc
	v_addc_co_u32_e32 v7, vcc, 0, v10, vcc
	v_add_co_u32_e32 v4, vcc, v4, v9
	v_addc_co_u32_e32 v9, vcc, 0, v7, vcc
	v_mul_lo_u32 v10, s19, v4
	v_mul_lo_u32 v11, s18, v9
	v_mad_u64_u32 v[7:8], s[0:1], s18, v4, 0
	v_add3_u32 v8, v8, v11, v10
	v_sub_u32_e32 v10, v6, v8
	v_mov_b32_e32 v11, s19
	v_sub_co_u32_e32 v7, vcc, v5, v7
	v_subb_co_u32_e64 v10, s[0:1], v10, v11, vcc
	v_subrev_co_u32_e64 v11, s[0:1], s18, v7
	v_subbrev_co_u32_e64 v10, s[0:1], 0, v10, s[0:1]
	v_cmp_le_u32_e64 s[0:1], s19, v10
	v_cndmask_b32_e64 v12, 0, -1, s[0:1]
	v_cmp_le_u32_e64 s[0:1], s18, v11
	v_cndmask_b32_e64 v11, 0, -1, s[0:1]
	v_cmp_eq_u32_e64 s[0:1], s19, v10
	v_cndmask_b32_e64 v10, v12, v11, s[0:1]
	v_add_co_u32_e64 v11, s[0:1], 2, v4
	v_addc_co_u32_e64 v12, s[0:1], 0, v9, s[0:1]
	v_add_co_u32_e64 v13, s[0:1], 1, v4
	v_addc_co_u32_e64 v14, s[0:1], 0, v9, s[0:1]
	v_subb_co_u32_e32 v8, vcc, v6, v8, vcc
	v_cmp_ne_u32_e64 s[0:1], 0, v10
	v_cmp_le_u32_e32 vcc, s19, v8
	v_cndmask_b32_e64 v10, v14, v12, s[0:1]
	v_cndmask_b32_e64 v12, 0, -1, vcc
	v_cmp_le_u32_e32 vcc, s18, v7
	v_cndmask_b32_e64 v7, 0, -1, vcc
	v_cmp_eq_u32_e32 vcc, s19, v8
	v_cndmask_b32_e32 v7, v12, v7, vcc
	v_cmp_ne_u32_e32 vcc, 0, v7
	v_cndmask_b32_e64 v7, v13, v11, s[0:1]
	v_cndmask_b32_e32 v8, v9, v10, vcc
	v_cndmask_b32_e32 v7, v4, v7, vcc
.LBB0_4:                                ;   in Loop: Header=BB0_2 Depth=1
	s_andn2_saveexec_b64 s[0:1], s[20:21]
	s_cbranch_execz .LBB0_6
; %bb.5:                                ;   in Loop: Header=BB0_2 Depth=1
	v_cvt_f32_u32_e32 v4, s18
	s_sub_i32 s20, 0, s18
	v_rcp_iflag_f32_e32 v4, v4
	v_mul_f32_e32 v4, 0x4f7ffffe, v4
	v_cvt_u32_f32_e32 v4, v4
	v_mul_lo_u32 v7, s20, v4
	v_mul_hi_u32 v7, v4, v7
	v_add_u32_e32 v4, v4, v7
	v_mul_hi_u32 v4, v5, v4
	v_mul_lo_u32 v7, v4, s18
	v_add_u32_e32 v8, 1, v4
	v_sub_u32_e32 v7, v5, v7
	v_subrev_u32_e32 v9, s18, v7
	v_cmp_le_u32_e32 vcc, s18, v7
	v_cndmask_b32_e32 v7, v7, v9, vcc
	v_cndmask_b32_e32 v4, v4, v8, vcc
	v_add_u32_e32 v8, 1, v4
	v_cmp_le_u32_e32 vcc, s18, v7
	v_cndmask_b32_e32 v7, v4, v8, vcc
	v_mov_b32_e32 v8, v3
.LBB0_6:                                ;   in Loop: Header=BB0_2 Depth=1
	s_or_b64 exec, exec, s[0:1]
	v_mul_lo_u32 v4, v8, s18
	v_mul_lo_u32 v11, v7, s19
	v_mad_u64_u32 v[9:10], s[0:1], v7, s18, 0
	s_load_dwordx2 s[0:1], s[6:7], 0x0
	s_add_u32 s16, s16, 1
	v_add3_u32 v4, v10, v11, v4
	v_sub_co_u32_e32 v5, vcc, v5, v9
	v_subb_co_u32_e32 v4, vcc, v6, v4, vcc
	s_waitcnt lgkmcnt(0)
	v_mul_lo_u32 v4, s0, v4
	v_mul_lo_u32 v6, s1, v5
	v_mad_u64_u32 v[1:2], s[0:1], s0, v5, v[1:2]
	s_addc_u32 s17, s17, 0
	s_add_u32 s6, s6, 8
	v_add3_u32 v2, v6, v2, v4
	v_mov_b32_e32 v4, s10
	v_mov_b32_e32 v5, s11
	s_addc_u32 s7, s7, 0
	v_cmp_ge_u64_e32 vcc, s[16:17], v[4:5]
	s_add_u32 s14, s14, 8
	s_addc_u32 s15, s15, 0
	s_cbranch_vccnz .LBB0_9
; %bb.7:                                ;   in Loop: Header=BB0_2 Depth=1
	v_mov_b32_e32 v5, v7
	v_mov_b32_e32 v6, v8
	s_branch .LBB0_2
.LBB0_8:
	v_mov_b32_e32 v8, v6
	v_mov_b32_e32 v7, v5
.LBB0_9:
	s_lshl_b64 s[0:1], s[10:11], 3
	s_add_u32 s0, s2, s0
	s_addc_u32 s1, s3, s1
	s_load_dwordx2 s[2:3], s[0:1], 0x0
	s_load_dwordx2 s[6:7], s[4:5], 0x20
	v_mov_b32_e32 v24, 0
	v_mov_b32_e32 v25, 0
	;; [unrolled: 1-line block ×3, first 2 shown]
	s_waitcnt lgkmcnt(0)
	v_mad_u64_u32 v[1:2], s[0:1], s2, v7, v[1:2]
	s_mov_b32 s0, 0x4924925
	v_mul_lo_u32 v3, s2, v8
	v_mul_lo_u32 v4, s3, v7
	v_mul_hi_u32 v5, v0, s0
	v_cmp_gt_u64_e64 s[0:1], s[6:7], v[7:8]
	v_mov_b32_e32 v6, v24
	v_add3_u32 v2, v4, v2, v3
	v_mul_u32_u24_e32 v3, 56, v5
	v_sub_u32_e32 v0, v0, v3
	v_lshlrev_b64 v[2:3], 3, v[1:2]
	v_mov_b32_e32 v4, v24
	v_mov_b32_e32 v8, v24
	;; [unrolled: 1-line block ×8, first 2 shown]
                                        ; implicit-def: $vgpr27
                                        ; implicit-def: $vgpr17
                                        ; implicit-def: $vgpr15
                                        ; implicit-def: $vgpr11
                                        ; implicit-def: $vgpr23
                                        ; implicit-def: $vgpr21
	s_and_saveexec_b64 s[2:3], s[0:1]
	s_cbranch_execz .LBB0_11
; %bb.10:
	v_mov_b32_e32 v1, 0
	v_mov_b32_e32 v4, s13
	v_add_co_u32_e32 v6, vcc, s12, v2
	v_addc_co_u32_e32 v7, vcc, v4, v3, vcc
	v_lshlrev_b64 v[4:5], 3, v[0:1]
	v_add_co_u32_e32 v28, vcc, v6, v4
	v_addc_co_u32_e32 v29, vcc, v7, v5, vcc
	v_add_co_u32_e32 v30, vcc, 0x1000, v28
	global_load_dwordx2 v[24:25], v[28:29], off
	global_load_dwordx2 v[12:13], v[28:29], off offset:448
	global_load_dwordx2 v[4:5], v[28:29], off offset:896
	;; [unrolled: 1-line block ×4, first 2 shown]
	v_addc_co_u32_e32 v31, vcc, 0, v29, vcc
	global_load_dwordx2 v[20:21], v[28:29], off offset:3136
	global_load_dwordx2 v[26:27], v[28:29], off offset:2688
	;; [unrolled: 1-line block ×7, first 2 shown]
.LBB0_11:
	s_or_b64 exec, exec, s[2:3]
	s_waitcnt vmcnt(5)
	v_sub_f32_e32 v28, v24, v26
	v_sub_f32_e32 v26, v25, v27
	v_fma_f32 v27, v24, 2.0, -v28
	v_lshl_add_u32 v24, v0, 3, 0
	ds_write_b64 v24, v[27:28]
	v_sub_f32_e32 v28, v12, v20
	v_add_u32_e32 v32, 56, v0
	v_fma_f32 v27, v12, 2.0, -v28
	v_lshl_add_u32 v20, v32, 3, 0
	ds_write_b64 v20, v[27:28]
	s_waitcnt vmcnt(3)
	v_sub_f32_e32 v28, v4, v22
	v_add_u32_e32 v12, 0x70, v0
	v_fma_f32 v27, v4, 2.0, -v28
	v_lshl_add_u32 v22, v12, 3, 0
	ds_write_b64 v22, v[27:28]
	s_waitcnt vmcnt(2)
	;; [unrolled: 6-line block ×4, first 2 shown]
	v_sub_f32_e32 v28, v18, v10
	v_add_u32_e32 v4, 0x118, v0
	v_lshlrev_b32_e32 v1, 2, v0
	v_sub_f32_e32 v8, v7, v17
	v_fma_f32 v27, v18, 2.0, -v28
	v_lshl_add_u32 v10, v4, 3, 0
	v_sub_u32_e32 v1, v24, v1
	v_fma_f32 v7, v7, 2.0, -v8
	ds_write_b64 v10, v[27:28]
	s_waitcnt lgkmcnt(0)
	; wave barrier
	s_waitcnt lgkmcnt(0)
	v_add_u32_e32 v30, 0x400, v1
	v_add_u32_e32 v28, 0x200, v1
	;; [unrolled: 1-line block ×3, first 2 shown]
	ds_read2_b32 v[33:34], v1 offset1:56
	ds_read2_b32 v[35:36], v30 offset0:80 offset1:136
	ds_read2_b32 v[37:38], v1 offset0:112 offset1:168
	;; [unrolled: 1-line block ×5, first 2 shown]
	s_waitcnt lgkmcnt(0)
	; wave barrier
	s_waitcnt lgkmcnt(0)
	v_sub_f32_e32 v14, v13, v21
	ds_write_b64 v29, v[7:8]
	v_sub_f32_e32 v8, v9, v15
	v_fma_f32 v13, v13, 2.0, -v14
	v_fma_f32 v7, v9, 2.0, -v8
	ds_write_b64 v20, v[13:14]
	v_sub_f32_e32 v14, v5, v23
	ds_write_b64 v45, v[7:8]
	v_sub_f32_e32 v8, v19, v11
	v_fma_f32 v13, v5, 2.0, -v14
	v_fma_f32 v7, v19, 2.0, -v8
	v_and_b32_e32 v5, 1, v0
	v_fma_f32 v25, v25, 2.0, -v26
	ds_write_b64 v10, v[7:8]
	v_lshlrev_b32_e32 v7, 3, v5
	ds_write_b64 v24, v[25:26]
	ds_write_b64 v22, v[13:14]
	s_waitcnt lgkmcnt(0)
	; wave barrier
	s_waitcnt lgkmcnt(0)
	global_load_dwordx2 v[7:8], v7, s[8:9]
	ds_read2_b32 v[9:10], v30 offset0:80 offset1:136
	ds_read2_b32 v[13:14], v30 offset0:192 offset1:248
	;; [unrolled: 1-line block ×3, first 2 shown]
	s_movk_i32 s2, 0x7c
	s_waitcnt vmcnt(0) lgkmcnt(2)
	v_mul_f32_e32 v11, v9, v8
	s_waitcnt lgkmcnt(1)
	v_mul_f32_e32 v20, v13, v8
	v_mul_f32_e32 v19, v35, v8
	;; [unrolled: 1-line block ×3, first 2 shown]
	v_fma_f32 v11, v35, v7, -v11
	v_fma_f32 v20, v39, v7, -v20
	v_mul_f32_e32 v35, v43, v8
	v_lshlrev_b32_e32 v39, 1, v0
	v_mul_f32_e32 v15, v10, v8
	v_mul_f32_e32 v21, v14, v8
	v_fmac_f32_e32 v19, v9, v7
	s_waitcnt lgkmcnt(0)
	v_mul_f32_e32 v9, v17, v8
	v_fmac_f32_e32 v35, v17, v7
	v_sub_f32_e32 v11, v33, v11
	v_and_or_b32 v17, v39, s2, v5
	v_mul_f32_e32 v27, v36, v8
	v_mul_f32_e32 v45, v40, v8
	v_fma_f32 v15, v36, v7, -v15
	v_fma_f32 v21, v40, v7, -v21
	;; [unrolled: 1-line block ×3, first 2 shown]
	v_mul_f32_e32 v9, v18, v8
	v_mul_f32_e32 v36, v44, v8
	v_lshl_add_u32 v40, v17, 2, 0
	v_fma_f32 v17, v33, 2.0, -v11
	s_movk_i32 s2, 0xfc
	v_lshlrev_b32_e32 v43, 1, v32
	v_fmac_f32_e32 v27, v10, v7
	v_fmac_f32_e32 v29, v13, v7
	;; [unrolled: 1-line block ×3, first 2 shown]
	v_fma_f32 v23, v44, v7, -v9
	v_fmac_f32_e32 v36, v18, v7
	ds_read2_b32 v[7:8], v1 offset1:56
	ds_read2_b32 v[9:10], v1 offset0:112 offset1:168
	ds_read2_b32 v[13:14], v28 offset0:96 offset1:152
	s_waitcnt lgkmcnt(0)
	; wave barrier
	s_waitcnt lgkmcnt(0)
	ds_write2_b32 v40, v17, v11 offset1:2
	v_sub_f32_e32 v11, v34, v15
	v_and_or_b32 v17, v43, s2, v5
	v_fma_f32 v15, v34, 2.0, -v11
	v_lshl_add_u32 v44, v17, 2, 0
	ds_write2_b32 v44, v15, v11 offset1:2
	s_movk_i32 s2, 0x1fc
	v_lshlrev_b32_e32 v15, 1, v12
	v_sub_f32_e32 v11, v37, v20
	v_and_or_b32 v17, v15, s2, v5
	v_lshl_add_u32 v46, v17, 2, 0
	v_fma_f32 v17, v37, 2.0, -v11
	v_lshlrev_b32_e32 v37, 1, v16
	ds_write2_b32 v46, v17, v11 offset1:2
	v_sub_f32_e32 v11, v38, v21
	v_and_or_b32 v18, v37, s2, v5
	v_fma_f32 v17, v38, 2.0, -v11
	v_lshl_add_u32 v38, v18, 2, 0
	ds_write2_b32 v38, v17, v11 offset1:2
	v_lshlrev_b32_e32 v11, 1, v31
	s_movk_i32 s2, 0x3fc
	v_sub_f32_e32 v17, v41, v22
	v_and_or_b32 v18, v11, s2, v5
	v_lshl_add_u32 v31, v18, 2, 0
	v_fma_f32 v18, v41, 2.0, -v17
	ds_write2_b32 v31, v18, v17 offset1:2
	v_sub_f32_e32 v17, v42, v23
	s_movk_i32 s2, 0x2fc
	v_lshlrev_b32_e32 v41, 1, v4
	v_fma_f32 v18, v42, 2.0, -v17
	v_and_or_b32 v5, v41, s2, v5
	v_sub_f32_e32 v42, v7, v19
	v_lshl_add_u32 v5, v5, 2, 0
	v_fma_f32 v7, v7, 2.0, -v42
	ds_write2_b32 v5, v18, v17 offset1:2
	s_waitcnt lgkmcnt(0)
	; wave barrier
	s_waitcnt lgkmcnt(0)
	ds_read2_b32 v[17:18], v1 offset1:56
	ds_read2_b32 v[19:20], v30 offset0:80 offset1:136
	ds_read2_b32 v[21:22], v1 offset0:112 offset1:168
	;; [unrolled: 1-line block ×5, first 2 shown]
	s_waitcnt lgkmcnt(0)
	; wave barrier
	s_waitcnt lgkmcnt(0)
	ds_write2_b32 v40, v7, v42 offset1:2
	v_sub_f32_e32 v7, v8, v27
	v_fma_f32 v8, v8, 2.0, -v7
	ds_write2_b32 v44, v8, v7 offset1:2
	v_sub_f32_e32 v7, v9, v29
	v_fma_f32 v8, v9, 2.0, -v7
	;; [unrolled: 3-line block ×5, first 2 shown]
	ds_write2_b32 v5, v8, v7 offset1:2
	v_and_b32_e32 v5, 3, v0
	v_lshlrev_b32_e32 v7, 3, v5
	s_waitcnt lgkmcnt(0)
	; wave barrier
	s_waitcnt lgkmcnt(0)
	global_load_dwordx2 v[7:8], v7, s[8:9] offset:16
	ds_read2_b32 v[9:10], v30 offset0:80 offset1:136
	s_movk_i32 s2, 0x78
	s_waitcnt vmcnt(0) lgkmcnt(0)
	v_mul_f32_e32 v13, v9, v8
	v_fma_f32 v27, v19, v7, -v13
	v_mul_f32_e32 v13, v10, v8
	v_fma_f32 v29, v20, v7, -v13
	ds_read2_b32 v[13:14], v30 offset0:192 offset1:248
	v_mul_f32_e32 v19, v19, v8
	v_fmac_f32_e32 v19, v9, v7
	v_mul_f32_e32 v31, v20, v8
	v_fmac_f32_e32 v31, v10, v7
	s_waitcnt lgkmcnt(0)
	v_mul_f32_e32 v9, v13, v8
	v_fma_f32 v20, v23, v7, -v9
	v_mul_f32_e32 v9, v14, v8
	v_fma_f32 v35, v24, v7, -v9
	ds_read2_b32 v[9:10], v6 offset0:48 offset1:104
	v_mul_f32_e32 v36, v23, v8
	v_fmac_f32_e32 v36, v13, v7
	v_mul_f32_e32 v40, v33, v8
	v_sub_f32_e32 v27, v17, v27
	s_waitcnt lgkmcnt(0)
	v_mul_f32_e32 v13, v9, v8
	v_fma_f32 v23, v33, v7, -v13
	v_and_or_b32 v33, v39, s2, v5
	v_mul_f32_e32 v38, v24, v8
	v_mul_f32_e32 v13, v10, v8
	;; [unrolled: 1-line block ×3, first 2 shown]
	v_lshl_add_u32 v44, v33, 2, 0
	v_fma_f32 v17, v17, 2.0, -v27
	s_movk_i32 s2, 0xf8
	v_fmac_f32_e32 v38, v14, v7
	v_fma_f32 v24, v34, v7, -v13
	v_fmac_f32_e32 v40, v9, v7
	v_fmac_f32_e32 v42, v10, v7
	ds_read2_b32 v[7:8], v1 offset1:56
	ds_read2_b32 v[9:10], v1 offset0:112 offset1:168
	ds_read2_b32 v[13:14], v28 offset0:96 offset1:152
	s_waitcnt lgkmcnt(0)
	; wave barrier
	s_waitcnt lgkmcnt(0)
	ds_write2_b32 v44, v17, v27 offset1:4
	v_sub_f32_e32 v17, v18, v29
	v_and_or_b32 v27, v43, s2, v5
	v_fma_f32 v18, v18, 2.0, -v17
	v_lshl_add_u32 v27, v27, 2, 0
	s_movk_i32 s2, 0x1f8
	ds_write2_b32 v27, v18, v17 offset1:4
	v_sub_f32_e32 v17, v21, v20
	v_and_or_b32 v18, v15, s2, v5
	v_lshl_add_u32 v29, v18, 2, 0
	v_fma_f32 v18, v21, 2.0, -v17
	ds_write2_b32 v29, v18, v17 offset1:4
	v_sub_f32_e32 v17, v22, v35
	v_and_or_b32 v20, v37, s2, v5
	v_fma_f32 v18, v22, 2.0, -v17
	v_lshl_add_u32 v35, v20, 2, 0
	s_movk_i32 s2, 0x3f8
	ds_write2_b32 v35, v18, v17 offset1:4
	v_sub_f32_e32 v17, v25, v23
	v_and_or_b32 v18, v11, s2, v5
	v_lshl_add_u32 v45, v18, 2, 0
	v_fma_f32 v18, v25, 2.0, -v17
	s_movk_i32 s2, 0x2f8
	ds_write2_b32 v45, v18, v17 offset1:4
	v_sub_f32_e32 v17, v26, v24
	v_and_or_b32 v5, v41, s2, v5
	v_sub_f32_e32 v46, v7, v19
	v_fma_f32 v18, v26, 2.0, -v17
	v_lshl_add_u32 v5, v5, 2, 0
	v_fma_f32 v7, v7, 2.0, -v46
	ds_write2_b32 v5, v18, v17 offset1:4
	s_waitcnt lgkmcnt(0)
	; wave barrier
	s_waitcnt lgkmcnt(0)
	ds_read2_b32 v[17:18], v1 offset1:56
	ds_read2_b32 v[19:20], v30 offset0:80 offset1:136
	ds_read2_b32 v[21:22], v1 offset0:112 offset1:168
	;; [unrolled: 1-line block ×5, first 2 shown]
	s_waitcnt lgkmcnt(0)
	; wave barrier
	s_waitcnt lgkmcnt(0)
	ds_write2_b32 v44, v7, v46 offset1:4
	v_sub_f32_e32 v7, v8, v31
	v_fma_f32 v8, v8, 2.0, -v7
	ds_write2_b32 v27, v8, v7 offset1:4
	v_sub_f32_e32 v7, v9, v36
	v_fma_f32 v8, v9, 2.0, -v7
	;; [unrolled: 3-line block ×5, first 2 shown]
	ds_write2_b32 v5, v8, v7 offset1:4
	v_and_b32_e32 v5, 7, v0
	v_lshlrev_b32_e32 v7, 3, v5
	s_waitcnt lgkmcnt(0)
	; wave barrier
	s_waitcnt lgkmcnt(0)
	global_load_dwordx2 v[7:8], v7, s[8:9] offset:48
	ds_read2_b32 v[9:10], v30 offset0:80 offset1:136
	s_movk_i32 s2, 0x70
	s_waitcnt vmcnt(0) lgkmcnt(0)
	v_mul_f32_e32 v13, v9, v8
	v_fma_f32 v27, v19, v7, -v13
	v_mul_f32_e32 v13, v10, v8
	v_fma_f32 v29, v20, v7, -v13
	ds_read2_b32 v[13:14], v30 offset0:192 offset1:248
	v_mul_f32_e32 v19, v19, v8
	v_fmac_f32_e32 v19, v9, v7
	v_mul_f32_e32 v31, v20, v8
	v_fmac_f32_e32 v31, v10, v7
	s_waitcnt lgkmcnt(0)
	v_mul_f32_e32 v9, v13, v8
	v_fma_f32 v20, v23, v7, -v9
	v_mul_f32_e32 v9, v14, v8
	v_fma_f32 v35, v24, v7, -v9
	ds_read2_b32 v[9:10], v6 offset0:48 offset1:104
	v_mul_f32_e32 v36, v23, v8
	v_fmac_f32_e32 v36, v13, v7
	v_mul_f32_e32 v40, v33, v8
	v_sub_f32_e32 v27, v17, v27
	s_waitcnt lgkmcnt(0)
	v_mul_f32_e32 v13, v9, v8
	v_fma_f32 v23, v33, v7, -v13
	v_and_or_b32 v33, v39, s2, v5
	v_mul_f32_e32 v38, v24, v8
	v_mul_f32_e32 v13, v10, v8
	;; [unrolled: 1-line block ×3, first 2 shown]
	v_lshl_add_u32 v44, v33, 2, 0
	v_fma_f32 v17, v17, 2.0, -v27
	s_movk_i32 s2, 0xf0
	v_fmac_f32_e32 v38, v14, v7
	v_fma_f32 v24, v34, v7, -v13
	v_fmac_f32_e32 v40, v9, v7
	v_fmac_f32_e32 v42, v10, v7
	ds_read2_b32 v[7:8], v1 offset1:56
	ds_read2_b32 v[9:10], v1 offset0:112 offset1:168
	ds_read2_b32 v[13:14], v28 offset0:96 offset1:152
	s_waitcnt lgkmcnt(0)
	; wave barrier
	s_waitcnt lgkmcnt(0)
	ds_write2_b32 v44, v17, v27 offset1:8
	v_sub_f32_e32 v17, v18, v29
	v_and_or_b32 v27, v43, s2, v5
	v_fma_f32 v18, v18, 2.0, -v17
	v_lshl_add_u32 v27, v27, 2, 0
	s_movk_i32 s2, 0x1f0
	ds_write2_b32 v27, v18, v17 offset1:8
	v_sub_f32_e32 v17, v21, v20
	v_and_or_b32 v18, v15, s2, v5
	v_lshl_add_u32 v29, v18, 2, 0
	v_fma_f32 v18, v21, 2.0, -v17
	ds_write2_b32 v29, v18, v17 offset1:8
	v_sub_f32_e32 v17, v22, v35
	v_and_or_b32 v20, v37, s2, v5
	v_fma_f32 v18, v22, 2.0, -v17
	v_lshl_add_u32 v35, v20, 2, 0
	s_movk_i32 s2, 0x3f0
	ds_write2_b32 v35, v18, v17 offset1:8
	v_sub_f32_e32 v17, v25, v23
	v_and_or_b32 v18, v11, s2, v5
	v_lshl_add_u32 v45, v18, 2, 0
	v_fma_f32 v18, v25, 2.0, -v17
	s_movk_i32 s2, 0x2f0
	ds_write2_b32 v45, v18, v17 offset1:8
	v_sub_f32_e32 v17, v26, v24
	v_and_or_b32 v5, v41, s2, v5
	v_sub_f32_e32 v46, v7, v19
	v_fma_f32 v18, v26, 2.0, -v17
	v_lshl_add_u32 v5, v5, 2, 0
	v_fma_f32 v7, v7, 2.0, -v46
	ds_write2_b32 v5, v18, v17 offset1:8
	s_waitcnt lgkmcnt(0)
	; wave barrier
	s_waitcnt lgkmcnt(0)
	ds_read2_b32 v[17:18], v1 offset1:56
	ds_read2_b32 v[19:20], v30 offset0:80 offset1:136
	ds_read2_b32 v[21:22], v1 offset0:112 offset1:168
	;; [unrolled: 1-line block ×5, first 2 shown]
	s_waitcnt lgkmcnt(0)
	; wave barrier
	s_waitcnt lgkmcnt(0)
	ds_write2_b32 v44, v7, v46 offset1:8
	v_sub_f32_e32 v7, v8, v31
	v_fma_f32 v8, v8, 2.0, -v7
	ds_write2_b32 v27, v8, v7 offset1:8
	v_sub_f32_e32 v7, v9, v36
	v_fma_f32 v8, v9, 2.0, -v7
	;; [unrolled: 3-line block ×5, first 2 shown]
	v_and_b32_e32 v27, 15, v16
	ds_write2_b32 v5, v8, v7 offset1:8
	v_lshlrev_b32_e32 v5, 3, v27
	s_waitcnt lgkmcnt(0)
	; wave barrier
	s_waitcnt lgkmcnt(0)
	global_load_dwordx2 v[7:8], v5, s[8:9] offset:112
	v_and_b32_e32 v29, 15, v4
	v_and_b32_e32 v31, 15, v0
	v_lshlrev_b32_e32 v14, 3, v29
	v_lshlrev_b32_e32 v13, 3, v31
	global_load_dwordx2 v[4:5], v14, s[8:9] offset:112
	global_load_dwordx2 v[9:10], v13, s[8:9] offset:112
	global_load_dword v35, v14, s[8:9] offset:116
	v_and_b32_e32 v36, 15, v32
	v_lshlrev_b32_e32 v13, 3, v36
	global_load_dword v38, v13, s[8:9] offset:112
	ds_read2_b32 v[13:14], v30 offset0:192 offset1:248
	s_movk_i32 s2, 0x60
	s_waitcnt vmcnt(4) lgkmcnt(0)
	v_mul_f32_e32 v40, v14, v8
	v_fma_f32 v40, v24, v7, -v40
	v_mul_f32_e32 v24, v24, v8
	v_fmac_f32_e32 v24, v14, v7
	s_waitcnt vmcnt(2)
	v_mul_f32_e32 v14, v13, v10
	ds_read2_b32 v[7:8], v30 offset0:80 offset1:136
	v_fma_f32 v42, v23, v9, -v14
	v_mul_f32_e32 v23, v23, v10
	v_fmac_f32_e32 v23, v13, v9
	ds_read2_b32 v[13:14], v6 offset0:48 offset1:104
	s_waitcnt lgkmcnt(1)
	v_mul_f32_e32 v44, v7, v10
	v_fma_f32 v44, v19, v9, -v44
	v_mul_f32_e32 v19, v19, v10
	v_fmac_f32_e32 v19, v7, v9
	s_waitcnt lgkmcnt(0)
	v_mul_f32_e32 v7, v13, v10
	v_fma_f32 v45, v33, v9, -v7
	s_waitcnt vmcnt(1)
	v_mul_f32_e32 v7, v14, v35
	v_fma_f32 v46, v34, v4, -v7
	v_mul_f32_e32 v34, v34, v35
	v_fmac_f32_e32 v34, v14, v4
	v_mul_f32_e32 v4, v8, v5
	v_mul_f32_e32 v52, v20, v5
	s_waitcnt vmcnt(0)
	v_fma_f32 v4, v20, v38, -v4
	v_sub_f32_e32 v5, v17, v44
	v_and_or_b32 v20, v39, s2, v31
	v_mul_f32_e32 v33, v33, v10
	v_lshl_add_u32 v20, v20, 2, 0
	v_fma_f32 v17, v17, 2.0, -v5
	s_movk_i32 s2, 0xe0
	v_fmac_f32_e32 v33, v13, v9
	v_fmac_f32_e32 v52, v8, v38
	ds_read2_b32 v[7:8], v1 offset1:56
	ds_read2_b32 v[9:10], v1 offset0:112 offset1:168
	ds_read2_b32 v[13:14], v28 offset0:96 offset1:152
	s_waitcnt lgkmcnt(0)
	; wave barrier
	s_waitcnt lgkmcnt(0)
	ds_write2_b32 v20, v17, v5 offset1:16
	v_sub_f32_e32 v4, v18, v4
	v_and_or_b32 v17, v43, s2, v36
	v_fma_f32 v5, v18, 2.0, -v4
	v_lshl_add_u32 v17, v17, 2, 0
	s_movk_i32 s2, 0x1e0
	ds_write2_b32 v17, v5, v4 offset1:16
	v_sub_f32_e32 v4, v21, v42
	v_and_or_b32 v5, v15, s2, v31
	v_lshl_add_u32 v15, v5, 2, 0
	v_fma_f32 v5, v21, 2.0, -v4
	ds_write2_b32 v15, v5, v4 offset1:16
	v_sub_f32_e32 v4, v22, v40
	v_and_or_b32 v18, v37, s2, v27
	v_fma_f32 v5, v22, 2.0, -v4
	v_lshl_add_u32 v18, v18, 2, 0
	s_movk_i32 s2, 0x3e0
	ds_write2_b32 v18, v5, v4 offset1:16
	v_and_or_b32 v4, v11, s2, v31
	v_sub_f32_e32 v5, v25, v45
	v_lshl_add_u32 v11, v4, 2, 0
	v_fma_f32 v4, v25, 2.0, -v5
	s_movk_i32 s2, 0x2e0
	ds_write2_b32 v11, v4, v5 offset1:16
	v_sub_f32_e32 v4, v26, v46
	v_and_or_b32 v21, v41, s2, v29
	v_sub_f32_e32 v19, v7, v19
	v_fma_f32 v5, v26, 2.0, -v4
	v_lshl_add_u32 v21, v21, 2, 0
	v_fma_f32 v7, v7, 2.0, -v19
	ds_write2_b32 v21, v5, v4 offset1:16
	s_waitcnt lgkmcnt(0)
	; wave barrier
	s_waitcnt lgkmcnt(0)
	ds_read2_b32 v[46:47], v1 offset1:56
	ds_read2_b32 v[25:26], v28 offset0:96 offset1:152
	ds_read2_b32 v[35:36], v30 offset0:192 offset1:248
	;; [unrolled: 1-line block ×5, first 2 shown]
	s_waitcnt lgkmcnt(0)
	; wave barrier
	s_waitcnt lgkmcnt(0)
	ds_write2_b32 v20, v7, v19 offset1:16
	v_sub_f32_e32 v7, v8, v52
	v_fma_f32 v8, v8, 2.0, -v7
	ds_write2_b32 v17, v8, v7 offset1:16
	v_sub_f32_e32 v7, v9, v23
	v_fma_f32 v8, v9, 2.0, -v7
	;; [unrolled: 3-line block ×4, first 2 shown]
	v_sub_f32_e32 v9, v14, v34
	v_fma_f32 v10, v14, 2.0, -v9
	ds_write2_b32 v11, v8, v7 offset1:16
	ds_write2_b32 v21, v10, v9 offset1:16
	v_and_b32_e32 v11, 31, v0
	v_lshlrev_b32_e32 v7, 4, v11
	s_waitcnt lgkmcnt(0)
	; wave barrier
	s_waitcnt lgkmcnt(0)
	global_load_dwordx4 v[7:10], v7, s[8:9] offset:240
	v_and_b32_e32 v13, 31, v32
	v_lshlrev_b32_e32 v14, 4, v13
	global_load_dwordx4 v[17:20], v14, s[8:9] offset:240
	v_and_b32_e32 v33, 31, v12
	v_lshlrev_b32_e32 v14, 4, v33
	global_load_dwordx4 v[21:24], v14, s[8:9] offset:240
	v_and_b32_e32 v52, 31, v16
	v_lshlrev_b32_e32 v14, 4, v52
	global_load_dwordx4 v[42:45], v14, s[8:9] offset:240
	ds_read2_b32 v[38:39], v28 offset0:96 offset1:152
	ds_read2_b32 v[40:41], v30 offset0:192 offset1:248
	v_lshrrev_b32_e32 v12, 5, v12
	v_mul_u32_u24_e32 v12, 0x60, v12
	v_or_b32_e32 v12, v12, v33
	v_cmp_gt_u32_e64 s[2:3], 40, v0
	s_waitcnt vmcnt(3) lgkmcnt(1)
	v_mul_f32_e32 v14, v38, v8
	v_mul_f32_e32 v27, v25, v8
	v_fma_f32 v15, v25, v7, -v14
	v_fmac_f32_e32 v27, v38, v7
	s_waitcnt lgkmcnt(0)
	v_mul_f32_e32 v7, v40, v10
	v_fma_f32 v34, v35, v9, -v7
	v_mul_f32_e32 v38, v35, v10
	s_waitcnt vmcnt(2)
	v_mul_f32_e32 v7, v39, v18
	v_fmac_f32_e32 v38, v40, v9
	v_fma_f32 v14, v26, v17, -v7
	v_mul_f32_e32 v9, v41, v20
	ds_read2_b32 v[7:8], v30 offset0:80 offset1:136
	v_fma_f32 v29, v36, v19, -v9
	ds_read2_b32 v[9:10], v6 offset0:48 offset1:104
	v_mul_f32_e32 v26, v26, v18
	v_fmac_f32_e32 v26, v39, v17
	s_waitcnt vmcnt(1) lgkmcnt(1)
	v_mul_f32_e32 v6, v7, v22
	v_fma_f32 v31, v48, v21, -v6
	s_waitcnt lgkmcnt(0)
	v_mul_f32_e32 v6, v9, v24
	v_mul_f32_e32 v39, v36, v20
	v_fma_f32 v40, v50, v23, -v6
	s_waitcnt vmcnt(0)
	v_mul_f32_e32 v6, v8, v43
	v_fmac_f32_e32 v39, v41, v19
	v_fma_f32 v19, v49, v42, -v6
	v_mul_f32_e32 v35, v49, v43
	v_mul_f32_e32 v6, v10, v45
	v_fmac_f32_e32 v35, v8, v42
	v_fma_f32 v37, v51, v44, -v6
	v_mul_f32_e32 v42, v51, v45
	v_lshrrev_b32_e32 v6, 5, v0
	v_add_f32_e32 v8, v15, v34
	v_mul_f32_e32 v36, v48, v22
	v_fmac_f32_e32 v42, v10, v44
	v_mul_u32_u24_e32 v6, 0x60, v6
	v_fma_f32 v10, -0.5, v8, v46
	v_fmac_f32_e32 v36, v7, v21
	v_or_b32_e32 v6, v6, v11
	v_add_f32_e32 v7, v46, v15
	v_sub_f32_e32 v11, v27, v38
	v_mov_b32_e32 v20, v10
	v_mul_f32_e32 v41, v50, v24
	v_add_f32_e32 v7, v7, v34
	v_fmac_f32_e32 v20, 0x3f5db3d7, v11
	v_lshl_add_u32 v43, v6, 2, 0
	v_fmac_f32_e32 v41, v9, v23
	ds_read2_b32 v[17:18], v1 offset1:56
	ds_read2_b32 v[8:9], v1 offset0:112 offset1:168
	s_waitcnt lgkmcnt(0)
	; wave barrier
	s_waitcnt lgkmcnt(0)
	ds_write2_b32 v43, v7, v20 offset1:32
	v_add_f32_e32 v7, v14, v29
	v_add_f32_e32 v6, v47, v14
	v_fmac_f32_e32 v47, -0.5, v7
	v_lshrrev_b32_e32 v7, 5, v32
	v_fmac_f32_e32 v10, 0xbf5db3d7, v11
	v_mul_u32_u24_e32 v7, 0x60, v7
	ds_write_b32 v43, v10 offset:256
	v_or_b32_e32 v7, v7, v13
	v_sub_f32_e32 v10, v26, v39
	v_mov_b32_e32 v11, v47
	v_add_f32_e32 v6, v6, v29
	v_fmac_f32_e32 v11, 0x3f5db3d7, v10
	v_lshl_add_u32 v44, v7, 2, 0
	ds_write2_b32 v44, v6, v11 offset1:32
	v_add_f32_e32 v6, v31, v40
	v_fma_f32 v7, -0.5, v6, v4
	v_fmac_f32_e32 v47, 0xbf5db3d7, v10
	v_mov_b32_e32 v6, v7
	v_sub_f32_e32 v10, v36, v41
	v_add_f32_e32 v4, v4, v31
	v_fmac_f32_e32 v6, 0x3f5db3d7, v10
	v_add_f32_e32 v4, v4, v40
	v_lshl_add_u32 v45, v12, 2, 0
	ds_write_b32 v44, v47 offset:256
	v_add_f32_e32 v11, v19, v37
	ds_write2_b32 v45, v4, v6 offset1:32
	v_lshrrev_b32_e32 v4, 5, v16
	v_fmac_f32_e32 v7, 0xbf5db3d7, v10
	v_add_f32_e32 v10, v5, v19
	v_fmac_f32_e32 v5, -0.5, v11
	v_mul_u32_u24_e32 v4, 0x60, v4
	v_mov_b32_e32 v11, v5
	v_sub_f32_e32 v13, v35, v42
	v_or_b32_e32 v4, v4, v52
	v_add_f32_e32 v10, v10, v37
	v_fmac_f32_e32 v11, 0x3f5db3d7, v13
	v_lshl_add_u32 v46, v4, 2, 0
	v_fmac_f32_e32 v5, 0xbf5db3d7, v13
	ds_write_b32 v45, v7 offset:256
	ds_write2_b32 v46, v10, v11 offset1:32
	ds_write_b32 v46, v5 offset:256
	s_waitcnt lgkmcnt(0)
	; wave barrier
	s_waitcnt lgkmcnt(0)
	ds_read_b32 v33, v1 offset:2304
	ds_read2_b32 v[20:21], v1 offset1:96
	ds_read2_b32 v[22:23], v28 offset0:64 offset1:160
	ds_read2_b32 v[24:25], v30 offset0:128 offset1:224
                                        ; implicit-def: $vgpr4
                                        ; implicit-def: $vgpr13
	s_and_saveexec_b64 s[4:5], s[2:3]
	s_cbranch_execz .LBB0_13
; %bb.12:
	v_add_u32_e32 v4, 0x600, v1
	ds_read2_b32 v[6:7], v1 offset0:56 offset1:152
	ds_read2_b32 v[10:11], v28 offset0:120 offset1:216
	ds_read2_b32 v[12:13], v4 offset0:56 offset1:152
	ds_read_b32 v4, v1 offset:2528
	s_waitcnt lgkmcnt(1)
	v_mov_b32_e32 v5, v12
.LBB0_13:
	s_or_b64 exec, exec, s[4:5]
	v_add_f32_e32 v16, v27, v38
	v_add_f32_e32 v12, v17, v27
	v_fma_f32 v27, -0.5, v16, v17
	v_sub_f32_e32 v15, v15, v34
	v_mov_b32_e32 v34, v27
	v_fmac_f32_e32 v34, 0xbf5db3d7, v15
	v_fmac_f32_e32 v27, 0x3f5db3d7, v15
	v_add_f32_e32 v15, v18, v26
	v_add_f32_e32 v12, v12, v38
	;; [unrolled: 1-line block ×4, first 2 shown]
	v_fmac_f32_e32 v18, -0.5, v15
	v_sub_f32_e32 v14, v14, v29
	v_mov_b32_e32 v26, v18
	v_fmac_f32_e32 v26, 0xbf5db3d7, v14
	v_fmac_f32_e32 v18, 0x3f5db3d7, v14
	v_add_f32_e32 v14, v8, v36
	v_add_f32_e32 v29, v14, v41
	;; [unrolled: 1-line block ×3, first 2 shown]
	v_fma_f32 v15, -0.5, v14, v8
	v_sub_f32_e32 v8, v31, v40
	v_mov_b32_e32 v14, v15
	v_fmac_f32_e32 v14, 0xbf5db3d7, v8
	v_fmac_f32_e32 v15, 0x3f5db3d7, v8
	v_add_f32_e32 v8, v9, v35
	v_add_f32_e32 v16, v8, v42
	;; [unrolled: 1-line block ×3, first 2 shown]
	v_fmac_f32_e32 v9, -0.5, v8
	v_sub_f32_e32 v8, v19, v37
	v_mov_b32_e32 v17, v9
	v_fmac_f32_e32 v17, 0xbf5db3d7, v8
	v_fmac_f32_e32 v9, 0x3f5db3d7, v8
	s_waitcnt lgkmcnt(0)
	; wave barrier
	s_waitcnt lgkmcnt(0)
	ds_write2_b32 v43, v12, v34 offset1:32
	ds_write_b32 v43, v27 offset:256
	ds_write2_b32 v44, v38, v26 offset1:32
	ds_write_b32 v44, v18 offset:256
	;; [unrolled: 2-line block ×4, first 2 shown]
	s_waitcnt lgkmcnt(0)
	; wave barrier
	s_waitcnt lgkmcnt(0)
	ds_read2_b32 v[26:27], v1 offset1:96
	ds_read2_b32 v[28:29], v28 offset0:64 offset1:160
	ds_read2_b32 v[30:31], v30 offset0:128 offset1:224
	ds_read_b32 v12, v1 offset:2304
                                        ; implicit-def: $vgpr8
                                        ; implicit-def: $vgpr19
	s_and_saveexec_b64 s[4:5], s[2:3]
	s_cbranch_execz .LBB0_15
; %bb.14:
	v_add_u32_e32 v8, 0x200, v1
	ds_read2_b32 v[16:17], v8 offset0:120 offset1:216
	v_add_u32_e32 v8, 0x600, v1
	ds_read2_b32 v[14:15], v1 offset0:56 offset1:152
	ds_read2_b32 v[18:19], v8 offset0:56 offset1:152
	ds_read_b32 v8, v1 offset:2528
	s_waitcnt lgkmcnt(1)
	v_mov_b32_e32 v9, v18
.LBB0_15:
	s_or_b64 exec, exec, s[4:5]
	s_and_saveexec_b64 s[4:5], s[0:1]
	s_cbranch_execz .LBB0_18
; %bb.16:
	v_mul_u32_u24_e32 v1, 6, v0
	v_lshlrev_b32_e32 v1, 3, v1
	global_load_dwordx4 v[34:37], v1, s[8:9] offset:752
	global_load_dwordx4 v[38:41], v1, s[8:9] offset:784
	;; [unrolled: 1-line block ×3, first 2 shown]
	s_mov_b32 s1, 0x3f5ff5aa
	s_mov_b32 s0, 0xbeae86e6
	;; [unrolled: 1-line block ×4, first 2 shown]
	s_waitcnt vmcnt(2) lgkmcnt(3)
	v_mul_f32_e32 v1, v27, v35
	s_waitcnt vmcnt(1) lgkmcnt(0)
	v_mul_f32_e32 v18, v12, v41
	s_waitcnt vmcnt(0)
	v_mul_f32_e32 v46, v30, v45
	v_mul_f32_e32 v47, v29, v43
	;; [unrolled: 1-line block ×10, first 2 shown]
	v_fma_f32 v24, v24, v44, -v46
	v_fma_f32 v25, v25, v38, -v49
	v_fma_f32 v23, v23, v42, -v47
	v_fma_f32 v22, v22, v36, -v48
	v_fma_f32 v18, v33, v40, -v18
	v_fma_f32 v1, v21, v34, -v1
	v_fmac_f32_e32 v41, v12, v40
	v_fmac_f32_e32 v35, v27, v34
	;; [unrolled: 1-line block ×6, first 2 shown]
	v_sub_f32_e32 v12, v1, v18
	v_sub_f32_e32 v21, v24, v23
	v_add_f32_e32 v28, v35, v41
	v_add_f32_e32 v29, v45, v43
	;; [unrolled: 1-line block ×6, first 2 shown]
	v_sub_f32_e32 v27, v22, v25
	v_sub_f32_e32 v31, v35, v41
	;; [unrolled: 1-line block ×4, first 2 shown]
	v_add_f32_e32 v36, v28, v30
	v_sub_f32_e32 v38, v18, v24
	v_add_f32_e32 v39, v1, v24
	v_sub_f32_e32 v23, v12, v21
	v_sub_f32_e32 v25, v21, v27
	v_add_f32_e32 v21, v21, v27
	v_sub_f32_e32 v34, v28, v29
	v_sub_f32_e32 v37, v1, v18
	v_mul_f32_e32 v35, 0x3d64c772, v35
	v_add_f32_e32 v29, v29, v36
	v_mul_f32_e32 v38, 0x3d64c772, v38
	v_add_f32_e32 v18, v18, v39
	v_sub_f32_e32 v22, v45, v43
	v_sub_f32_e32 v27, v27, v12
	v_add_f32_e32 v12, v12, v21
	v_mov_b32_e32 v43, v35
	v_add_f32_e32 v21, v26, v29
	v_mov_b32_e32 v26, v38
	v_add_f32_e32 v20, v20, v18
	v_sub_f32_e32 v40, v31, v22
	v_sub_f32_e32 v41, v22, v33
	v_add_f32_e32 v22, v22, v33
	v_sub_f32_e32 v28, v30, v28
	v_mul_f32_e32 v30, 0xbf08b237, v25
	v_mul_f32_e32 v25, 0x3f4a47b2, v34
	;; [unrolled: 1-line block ×3, first 2 shown]
	v_fmac_f32_e32 v43, 0x3f4a47b2, v34
	v_mov_b32_e32 v34, v21
	v_fmac_f32_e32 v26, 0x3f4a47b2, v37
	v_mov_b32_e32 v37, v20
	v_mul_f32_e32 v39, 0xbf08b237, v41
	v_add_f32_e32 v41, v31, v22
	v_mul_f32_e32 v22, 0x3f5ff5aa, v27
	v_mov_b32_e32 v42, v30
	v_fmac_f32_e32 v34, 0xbf955555, v29
	v_fmac_f32_e32 v37, 0xbf955555, v18
	v_fma_f32 v45, v23, s0, -v22
	v_fmac_f32_e32 v42, 0x3eae86e6, v23
	v_add_f32_e32 v18, v43, v34
	v_add_f32_e32 v43, v26, v37
	v_sub_f32_e32 v1, v24, v1
	v_sub_f32_e32 v26, v33, v31
	v_fma_f32 v29, v27, s1, -v30
	v_fma_f32 v25, v28, s4, -v25
	v_fmac_f32_e32 v45, 0x3ee1c552, v12
	v_fmac_f32_e32 v42, 0x3ee1c552, v12
	v_fma_f32 v24, v1, s4, -v36
	v_fma_f32 v28, v28, s5, -v35
	v_fmac_f32_e32 v29, 0x3ee1c552, v12
	v_fma_f32 v12, v26, s1, -v39
	v_fma_f32 v1, v1, s5, -v38
	v_add_f32_e32 v28, v28, v34
	v_fmac_f32_e32 v12, 0x3ee1c552, v41
	v_add_f32_e32 v1, v1, v37
	v_add_f32_e32 v23, v42, v18
	;; [unrolled: 1-line block ×4, first 2 shown]
	v_mul_f32_e32 v24, 0x3f5ff5aa, v26
	v_sub_f32_e32 v27, v28, v29
	v_add_f32_e32 v26, v12, v1
	v_add_f32_e32 v29, v29, v28
	v_sub_f32_e32 v28, v1, v12
	v_sub_f32_e32 v34, v18, v42
	v_mov_b32_e32 v1, 0
	v_mov_b32_e32 v12, s13
	v_add_co_u32_e32 v18, vcc, s12, v2
	v_addc_co_u32_e32 v12, vcc, v12, v3, vcc
	v_lshlrev_b64 v[2:3], 3, v[0:1]
	v_mov_b32_e32 v44, v39
	v_fmac_f32_e32 v44, 0x3eae86e6, v40
	v_fma_f32 v33, v40, s0, -v24
	v_add_co_u32_e32 v2, vcc, v18, v2
	v_fmac_f32_e32 v44, 0x3ee1c552, v41
	v_fmac_f32_e32 v33, 0x3ee1c552, v41
	v_addc_co_u32_e32 v3, vcc, v12, v3, vcc
	v_add_f32_e32 v25, v45, v46
	v_sub_f32_e32 v24, v36, v33
	v_sub_f32_e32 v31, v46, v45
	v_add_f32_e32 v30, v33, v36
	v_add_f32_e32 v33, v44, v43
	global_store_dwordx2 v[2:3], v[20:21], off
	global_store_dwordx2 v[2:3], v[33:34], off offset:768
	global_store_dwordx2 v[2:3], v[30:31], off offset:1536
	global_store_dwordx2 v[2:3], v[28:29], off offset:2304
	global_store_dwordx2 v[2:3], v[26:27], off offset:3072
	global_store_dwordx2 v[2:3], v[24:25], off offset:3840
	v_add_co_u32_e32 v20, vcc, 0x1000, v2
	v_sub_f32_e32 v22, v43, v44
	v_addc_co_u32_e32 v21, vcc, 0, v3, vcc
	global_store_dwordx2 v[20:21], v[22:23], off offset:512
	s_and_b64 exec, exec, s[2:3]
	s_cbranch_execz .LBB0_18
; %bb.17:
	v_subrev_u32_e32 v0, 40, v0
	v_cndmask_b32_e64 v0, v0, v32, s[2:3]
	v_mul_i32_i24_e32 v0, 6, v0
	v_lshlrev_b64 v[0:1], 3, v[0:1]
	v_mov_b32_e32 v12, s9
	v_add_co_u32_e32 v0, vcc, s8, v0
	v_addc_co_u32_e32 v1, vcc, v12, v1, vcc
	global_load_dwordx4 v[20:23], v[0:1], off offset:752
	global_load_dwordx4 v[24:27], v[0:1], off offset:768
	;; [unrolled: 1-line block ×3, first 2 shown]
	s_waitcnt vmcnt(2)
	v_mul_f32_e32 v0, v15, v21
	v_mul_f32_e32 v1, v7, v21
	v_mul_f32_e32 v12, v16, v23
	v_mul_f32_e32 v18, v10, v23
	s_waitcnt vmcnt(1)
	v_mul_f32_e32 v21, v17, v25
	v_mul_f32_e32 v23, v11, v25
	v_mul_f32_e32 v25, v9, v27
	v_mul_f32_e32 v27, v5, v27
	;; [unrolled: 5-line block ×3, first 2 shown]
	v_fma_f32 v0, v7, v20, -v0
	v_fmac_f32_e32 v1, v15, v20
	v_fma_f32 v7, v10, v22, -v12
	v_fmac_f32_e32 v18, v16, v22
	v_fmac_f32_e32 v27, v9, v26
	v_fma_f32 v9, v13, v28, -v32
	v_fmac_f32_e32 v29, v19, v28
	v_fma_f32 v4, v4, v30, -v33
	;; [unrolled: 2-line block ×4, first 2 shown]
	v_add_f32_e32 v8, v0, v4
	v_add_f32_e32 v11, v1, v31
	v_sub_f32_e32 v0, v0, v4
	v_add_f32_e32 v4, v7, v9
	v_add_f32_e32 v12, v18, v29
	v_sub_f32_e32 v7, v7, v9
	v_sub_f32_e32 v9, v18, v29
	v_add_f32_e32 v13, v10, v5
	v_add_f32_e32 v15, v23, v27
	v_sub_f32_e32 v5, v5, v10
	;; [unrolled: 4-line block ×3, first 2 shown]
	v_sub_f32_e32 v18, v4, v8
	v_sub_f32_e32 v19, v12, v11
	;; [unrolled: 1-line block ×6, first 2 shown]
	v_add_f32_e32 v20, v5, v7
	v_add_f32_e32 v21, v10, v9
	v_sub_f32_e32 v22, v5, v7
	v_sub_f32_e32 v7, v7, v0
	v_add_f32_e32 v13, v13, v16
	v_add_f32_e32 v15, v15, v17
	v_sub_f32_e32 v23, v10, v9
	v_sub_f32_e32 v5, v0, v5
	;; [unrolled: 1-line block ×4, first 2 shown]
	v_add_f32_e32 v16, v20, v0
	v_add_f32_e32 v17, v21, v1
	v_mul_f32_e32 v8, 0x3f4a47b2, v8
	v_mul_f32_e32 v11, 0x3f4a47b2, v11
	;; [unrolled: 1-line block ×5, first 2 shown]
	v_add_f32_e32 v0, v6, v13
	v_add_f32_e32 v1, v14, v15
	v_mul_f32_e32 v21, 0x3d64c772, v12
	v_mul_f32_e32 v23, 0xbf08b237, v23
	;; [unrolled: 1-line block ×3, first 2 shown]
	v_fma_f32 v6, v18, s5, -v20
	v_fma_f32 v18, v18, s4, -v8
	v_fmac_f32_e32 v8, 0x3d64c772, v4
	v_fma_f32 v4, v19, s4, -v11
	v_fmac_f32_e32 v11, 0x3d64c772, v12
	;; [unrolled: 2-line block ×3, first 2 shown]
	v_fma_f32 v20, v5, s0, -v24
	v_mov_b32_e32 v5, v0
	v_mov_b32_e32 v7, v1
	v_fma_f32 v14, v19, s5, -v21
	v_fma_f32 v19, v9, s1, -v23
	v_fmac_f32_e32 v23, 0x3eae86e6, v10
	v_fma_f32 v21, v10, s0, -v25
	v_fmac_f32_e32 v5, 0xbf955555, v13
	v_fmac_f32_e32 v7, 0xbf955555, v15
	v_add_f32_e32 v15, v8, v5
	v_add_f32_e32 v24, v11, v7
	;; [unrolled: 1-line block ×6, first 2 shown]
	v_fmac_f32_e32 v22, 0x3ee1c552, v16
	v_fmac_f32_e32 v23, 0x3ee1c552, v17
	;; [unrolled: 1-line block ×6, first 2 shown]
	v_add_f32_e32 v4, v23, v15
	v_sub_f32_e32 v5, v24, v22
	v_add_f32_e32 v6, v21, v13
	v_sub_f32_e32 v7, v14, v20
	v_sub_f32_e32 v8, v10, v19
	v_add_f32_e32 v9, v12, v11
	v_add_f32_e32 v10, v19, v10
	v_sub_f32_e32 v11, v11, v12
	global_store_dwordx2 v[2:3], v[0:1], off offset:448
	global_store_dwordx2 v[2:3], v[4:5], off offset:1216
	;; [unrolled: 1-line block ×5, first 2 shown]
	v_add_co_u32_e32 v0, vcc, 0x1000, v2
	v_sub_f32_e32 v12, v13, v21
	v_add_f32_e32 v13, v20, v14
	v_addc_co_u32_e32 v1, vcc, 0, v3, vcc
	v_sub_f32_e32 v14, v15, v23
	v_add_f32_e32 v15, v22, v24
	global_store_dwordx2 v[0:1], v[12:13], off offset:192
	global_store_dwordx2 v[0:1], v[14:15], off offset:960
.LBB0_18:
	s_endpgm
	.section	.rodata,"a",@progbits
	.p2align	6, 0x0
	.amdhsa_kernel fft_rtc_fwd_len672_factors_2_2_2_2_2_3_7_wgs_56_tpt_56_halfLds_sp_ip_CI_unitstride_sbrr_dirReg
		.amdhsa_group_segment_fixed_size 0
		.amdhsa_private_segment_fixed_size 0
		.amdhsa_kernarg_size 88
		.amdhsa_user_sgpr_count 6
		.amdhsa_user_sgpr_private_segment_buffer 1
		.amdhsa_user_sgpr_dispatch_ptr 0
		.amdhsa_user_sgpr_queue_ptr 0
		.amdhsa_user_sgpr_kernarg_segment_ptr 1
		.amdhsa_user_sgpr_dispatch_id 0
		.amdhsa_user_sgpr_flat_scratch_init 0
		.amdhsa_user_sgpr_private_segment_size 0
		.amdhsa_uses_dynamic_stack 0
		.amdhsa_system_sgpr_private_segment_wavefront_offset 0
		.amdhsa_system_sgpr_workgroup_id_x 1
		.amdhsa_system_sgpr_workgroup_id_y 0
		.amdhsa_system_sgpr_workgroup_id_z 0
		.amdhsa_system_sgpr_workgroup_info 0
		.amdhsa_system_vgpr_workitem_id 0
		.amdhsa_next_free_vgpr 53
		.amdhsa_next_free_sgpr 22
		.amdhsa_reserve_vcc 1
		.amdhsa_reserve_flat_scratch 0
		.amdhsa_float_round_mode_32 0
		.amdhsa_float_round_mode_16_64 0
		.amdhsa_float_denorm_mode_32 3
		.amdhsa_float_denorm_mode_16_64 3
		.amdhsa_dx10_clamp 1
		.amdhsa_ieee_mode 1
		.amdhsa_fp16_overflow 0
		.amdhsa_exception_fp_ieee_invalid_op 0
		.amdhsa_exception_fp_denorm_src 0
		.amdhsa_exception_fp_ieee_div_zero 0
		.amdhsa_exception_fp_ieee_overflow 0
		.amdhsa_exception_fp_ieee_underflow 0
		.amdhsa_exception_fp_ieee_inexact 0
		.amdhsa_exception_int_div_zero 0
	.end_amdhsa_kernel
	.text
.Lfunc_end0:
	.size	fft_rtc_fwd_len672_factors_2_2_2_2_2_3_7_wgs_56_tpt_56_halfLds_sp_ip_CI_unitstride_sbrr_dirReg, .Lfunc_end0-fft_rtc_fwd_len672_factors_2_2_2_2_2_3_7_wgs_56_tpt_56_halfLds_sp_ip_CI_unitstride_sbrr_dirReg
                                        ; -- End function
	.section	.AMDGPU.csdata,"",@progbits
; Kernel info:
; codeLenInByte = 6944
; NumSgprs: 26
; NumVgprs: 53
; ScratchSize: 0
; MemoryBound: 0
; FloatMode: 240
; IeeeMode: 1
; LDSByteSize: 0 bytes/workgroup (compile time only)
; SGPRBlocks: 3
; VGPRBlocks: 13
; NumSGPRsForWavesPerEU: 26
; NumVGPRsForWavesPerEU: 53
; Occupancy: 4
; WaveLimiterHint : 1
; COMPUTE_PGM_RSRC2:SCRATCH_EN: 0
; COMPUTE_PGM_RSRC2:USER_SGPR: 6
; COMPUTE_PGM_RSRC2:TRAP_HANDLER: 0
; COMPUTE_PGM_RSRC2:TGID_X_EN: 1
; COMPUTE_PGM_RSRC2:TGID_Y_EN: 0
; COMPUTE_PGM_RSRC2:TGID_Z_EN: 0
; COMPUTE_PGM_RSRC2:TIDIG_COMP_CNT: 0
	.type	__hip_cuid_4ac697d51812ff31,@object ; @__hip_cuid_4ac697d51812ff31
	.section	.bss,"aw",@nobits
	.globl	__hip_cuid_4ac697d51812ff31
__hip_cuid_4ac697d51812ff31:
	.byte	0                               ; 0x0
	.size	__hip_cuid_4ac697d51812ff31, 1

	.ident	"AMD clang version 19.0.0git (https://github.com/RadeonOpenCompute/llvm-project roc-6.4.0 25133 c7fe45cf4b819c5991fe208aaa96edf142730f1d)"
	.section	".note.GNU-stack","",@progbits
	.addrsig
	.addrsig_sym __hip_cuid_4ac697d51812ff31
	.amdgpu_metadata
---
amdhsa.kernels:
  - .args:
      - .actual_access:  read_only
        .address_space:  global
        .offset:         0
        .size:           8
        .value_kind:     global_buffer
      - .offset:         8
        .size:           8
        .value_kind:     by_value
      - .actual_access:  read_only
        .address_space:  global
        .offset:         16
        .size:           8
        .value_kind:     global_buffer
      - .actual_access:  read_only
        .address_space:  global
        .offset:         24
        .size:           8
        .value_kind:     global_buffer
      - .offset:         32
        .size:           8
        .value_kind:     by_value
      - .actual_access:  read_only
        .address_space:  global
        .offset:         40
        .size:           8
        .value_kind:     global_buffer
      - .actual_access:  read_only
        .address_space:  global
        .offset:         48
        .size:           8
        .value_kind:     global_buffer
      - .offset:         56
        .size:           4
        .value_kind:     by_value
      - .actual_access:  read_only
        .address_space:  global
        .offset:         64
        .size:           8
        .value_kind:     global_buffer
      - .actual_access:  read_only
        .address_space:  global
        .offset:         72
        .size:           8
        .value_kind:     global_buffer
      - .address_space:  global
        .offset:         80
        .size:           8
        .value_kind:     global_buffer
    .group_segment_fixed_size: 0
    .kernarg_segment_align: 8
    .kernarg_segment_size: 88
    .language:       OpenCL C
    .language_version:
      - 2
      - 0
    .max_flat_workgroup_size: 56
    .name:           fft_rtc_fwd_len672_factors_2_2_2_2_2_3_7_wgs_56_tpt_56_halfLds_sp_ip_CI_unitstride_sbrr_dirReg
    .private_segment_fixed_size: 0
    .sgpr_count:     26
    .sgpr_spill_count: 0
    .symbol:         fft_rtc_fwd_len672_factors_2_2_2_2_2_3_7_wgs_56_tpt_56_halfLds_sp_ip_CI_unitstride_sbrr_dirReg.kd
    .uniform_work_group_size: 1
    .uses_dynamic_stack: false
    .vgpr_count:     53
    .vgpr_spill_count: 0
    .wavefront_size: 64
amdhsa.target:   amdgcn-amd-amdhsa--gfx906
amdhsa.version:
  - 1
  - 2
...

	.end_amdgpu_metadata
